;; amdgpu-corpus repo=ROCm/rocFFT kind=compiled arch=gfx906 opt=O3
	.text
	.amdgcn_target "amdgcn-amd-amdhsa--gfx906"
	.amdhsa_code_object_version 6
	.protected	fft_rtc_back_len594_factors_11_3_6_3_wgs_99_tpt_99_dp_ip_CI_unitstride_sbrr_dirReg ; -- Begin function fft_rtc_back_len594_factors_11_3_6_3_wgs_99_tpt_99_dp_ip_CI_unitstride_sbrr_dirReg
	.globl	fft_rtc_back_len594_factors_11_3_6_3_wgs_99_tpt_99_dp_ip_CI_unitstride_sbrr_dirReg
	.p2align	8
	.type	fft_rtc_back_len594_factors_11_3_6_3_wgs_99_tpt_99_dp_ip_CI_unitstride_sbrr_dirReg,@function
fft_rtc_back_len594_factors_11_3_6_3_wgs_99_tpt_99_dp_ip_CI_unitstride_sbrr_dirReg: ; @fft_rtc_back_len594_factors_11_3_6_3_wgs_99_tpt_99_dp_ip_CI_unitstride_sbrr_dirReg
; %bb.0:
	s_load_dwordx2 s[12:13], s[4:5], 0x50
	s_load_dwordx4 s[8:11], s[4:5], 0x0
	s_load_dwordx2 s[2:3], s[4:5], 0x18
	v_mul_u32_u24_e32 v1, 0x296, v0
	v_add_u32_sdwa v5, s6, v1 dst_sel:DWORD dst_unused:UNUSED_PAD src0_sel:DWORD src1_sel:WORD_1
	v_mov_b32_e32 v3, 0
	s_waitcnt lgkmcnt(0)
	v_cmp_lt_u64_e64 s[0:1], s[10:11], 2
	v_mov_b32_e32 v1, 0
	v_mov_b32_e32 v6, v3
	s_and_b64 vcc, exec, s[0:1]
	v_mov_b32_e32 v2, 0
	s_cbranch_vccnz .LBB0_8
; %bb.1:
	s_load_dwordx2 s[0:1], s[4:5], 0x10
	s_add_u32 s6, s2, 8
	s_addc_u32 s7, s3, 0
	v_mov_b32_e32 v1, 0
	v_mov_b32_e32 v2, 0
	s_waitcnt lgkmcnt(0)
	s_add_u32 s14, s0, 8
	s_addc_u32 s15, s1, 0
	s_mov_b64 s[16:17], 1
.LBB0_2:                                ; =>This Inner Loop Header: Depth=1
	s_load_dwordx2 s[18:19], s[14:15], 0x0
                                        ; implicit-def: $vgpr7_vgpr8
	s_waitcnt lgkmcnt(0)
	v_or_b32_e32 v4, s19, v6
	v_cmp_ne_u64_e32 vcc, 0, v[3:4]
	s_and_saveexec_b64 s[0:1], vcc
	s_xor_b64 s[20:21], exec, s[0:1]
	s_cbranch_execz .LBB0_4
; %bb.3:                                ;   in Loop: Header=BB0_2 Depth=1
	v_cvt_f32_u32_e32 v4, s18
	v_cvt_f32_u32_e32 v7, s19
	s_sub_u32 s0, 0, s18
	s_subb_u32 s1, 0, s19
	v_mac_f32_e32 v4, 0x4f800000, v7
	v_rcp_f32_e32 v4, v4
	v_mul_f32_e32 v4, 0x5f7ffffc, v4
	v_mul_f32_e32 v7, 0x2f800000, v4
	v_trunc_f32_e32 v7, v7
	v_mac_f32_e32 v4, 0xcf800000, v7
	v_cvt_u32_f32_e32 v7, v7
	v_cvt_u32_f32_e32 v4, v4
	v_mul_lo_u32 v8, s0, v7
	v_mul_hi_u32 v9, s0, v4
	v_mul_lo_u32 v11, s1, v4
	v_mul_lo_u32 v10, s0, v4
	v_add_u32_e32 v8, v9, v8
	v_add_u32_e32 v8, v8, v11
	v_mul_hi_u32 v9, v4, v10
	v_mul_lo_u32 v11, v4, v8
	v_mul_hi_u32 v13, v4, v8
	v_mul_hi_u32 v12, v7, v10
	v_mul_lo_u32 v10, v7, v10
	v_mul_hi_u32 v14, v7, v8
	v_add_co_u32_e32 v9, vcc, v9, v11
	v_addc_co_u32_e32 v11, vcc, 0, v13, vcc
	v_mul_lo_u32 v8, v7, v8
	v_add_co_u32_e32 v9, vcc, v9, v10
	v_addc_co_u32_e32 v9, vcc, v11, v12, vcc
	v_addc_co_u32_e32 v10, vcc, 0, v14, vcc
	v_add_co_u32_e32 v8, vcc, v9, v8
	v_addc_co_u32_e32 v9, vcc, 0, v10, vcc
	v_add_co_u32_e32 v4, vcc, v4, v8
	v_addc_co_u32_e32 v7, vcc, v7, v9, vcc
	v_mul_lo_u32 v8, s0, v7
	v_mul_hi_u32 v9, s0, v4
	v_mul_lo_u32 v10, s1, v4
	v_mul_lo_u32 v11, s0, v4
	v_add_u32_e32 v8, v9, v8
	v_add_u32_e32 v8, v8, v10
	v_mul_lo_u32 v12, v4, v8
	v_mul_hi_u32 v13, v4, v11
	v_mul_hi_u32 v14, v4, v8
	;; [unrolled: 1-line block ×3, first 2 shown]
	v_mul_lo_u32 v11, v7, v11
	v_mul_hi_u32 v9, v7, v8
	v_add_co_u32_e32 v12, vcc, v13, v12
	v_addc_co_u32_e32 v13, vcc, 0, v14, vcc
	v_mul_lo_u32 v8, v7, v8
	v_add_co_u32_e32 v11, vcc, v12, v11
	v_addc_co_u32_e32 v10, vcc, v13, v10, vcc
	v_addc_co_u32_e32 v9, vcc, 0, v9, vcc
	v_add_co_u32_e32 v8, vcc, v10, v8
	v_addc_co_u32_e32 v9, vcc, 0, v9, vcc
	v_add_co_u32_e32 v4, vcc, v4, v8
	v_addc_co_u32_e32 v9, vcc, v7, v9, vcc
	v_mad_u64_u32 v[7:8], s[0:1], v5, v9, 0
	v_mul_hi_u32 v10, v5, v4
	v_add_co_u32_e32 v11, vcc, v10, v7
	v_addc_co_u32_e32 v12, vcc, 0, v8, vcc
	v_mad_u64_u32 v[7:8], s[0:1], v6, v4, 0
	v_mad_u64_u32 v[9:10], s[0:1], v6, v9, 0
	v_add_co_u32_e32 v4, vcc, v11, v7
	v_addc_co_u32_e32 v4, vcc, v12, v8, vcc
	v_addc_co_u32_e32 v7, vcc, 0, v10, vcc
	v_add_co_u32_e32 v4, vcc, v4, v9
	v_addc_co_u32_e32 v9, vcc, 0, v7, vcc
	v_mul_lo_u32 v10, s19, v4
	v_mul_lo_u32 v11, s18, v9
	v_mad_u64_u32 v[7:8], s[0:1], s18, v4, 0
	v_add3_u32 v8, v8, v11, v10
	v_sub_u32_e32 v10, v6, v8
	v_mov_b32_e32 v11, s19
	v_sub_co_u32_e32 v7, vcc, v5, v7
	v_subb_co_u32_e64 v10, s[0:1], v10, v11, vcc
	v_subrev_co_u32_e64 v11, s[0:1], s18, v7
	v_subbrev_co_u32_e64 v10, s[0:1], 0, v10, s[0:1]
	v_cmp_le_u32_e64 s[0:1], s19, v10
	v_cndmask_b32_e64 v12, 0, -1, s[0:1]
	v_cmp_le_u32_e64 s[0:1], s18, v11
	v_cndmask_b32_e64 v11, 0, -1, s[0:1]
	v_cmp_eq_u32_e64 s[0:1], s19, v10
	v_cndmask_b32_e64 v10, v12, v11, s[0:1]
	v_add_co_u32_e64 v11, s[0:1], 2, v4
	v_addc_co_u32_e64 v12, s[0:1], 0, v9, s[0:1]
	v_add_co_u32_e64 v13, s[0:1], 1, v4
	v_addc_co_u32_e64 v14, s[0:1], 0, v9, s[0:1]
	v_subb_co_u32_e32 v8, vcc, v6, v8, vcc
	v_cmp_ne_u32_e64 s[0:1], 0, v10
	v_cmp_le_u32_e32 vcc, s19, v8
	v_cndmask_b32_e64 v10, v14, v12, s[0:1]
	v_cndmask_b32_e64 v12, 0, -1, vcc
	v_cmp_le_u32_e32 vcc, s18, v7
	v_cndmask_b32_e64 v7, 0, -1, vcc
	v_cmp_eq_u32_e32 vcc, s19, v8
	v_cndmask_b32_e32 v7, v12, v7, vcc
	v_cmp_ne_u32_e32 vcc, 0, v7
	v_cndmask_b32_e64 v7, v13, v11, s[0:1]
	v_cndmask_b32_e32 v8, v9, v10, vcc
	v_cndmask_b32_e32 v7, v4, v7, vcc
.LBB0_4:                                ;   in Loop: Header=BB0_2 Depth=1
	s_andn2_saveexec_b64 s[0:1], s[20:21]
	s_cbranch_execz .LBB0_6
; %bb.5:                                ;   in Loop: Header=BB0_2 Depth=1
	v_cvt_f32_u32_e32 v4, s18
	s_sub_i32 s20, 0, s18
	v_rcp_iflag_f32_e32 v4, v4
	v_mul_f32_e32 v4, 0x4f7ffffe, v4
	v_cvt_u32_f32_e32 v4, v4
	v_mul_lo_u32 v7, s20, v4
	v_mul_hi_u32 v7, v4, v7
	v_add_u32_e32 v4, v4, v7
	v_mul_hi_u32 v4, v5, v4
	v_mul_lo_u32 v7, v4, s18
	v_add_u32_e32 v8, 1, v4
	v_sub_u32_e32 v7, v5, v7
	v_subrev_u32_e32 v9, s18, v7
	v_cmp_le_u32_e32 vcc, s18, v7
	v_cndmask_b32_e32 v7, v7, v9, vcc
	v_cndmask_b32_e32 v4, v4, v8, vcc
	v_add_u32_e32 v8, 1, v4
	v_cmp_le_u32_e32 vcc, s18, v7
	v_cndmask_b32_e32 v7, v4, v8, vcc
	v_mov_b32_e32 v8, v3
.LBB0_6:                                ;   in Loop: Header=BB0_2 Depth=1
	s_or_b64 exec, exec, s[0:1]
	v_mul_lo_u32 v4, v8, s18
	v_mul_lo_u32 v11, v7, s19
	v_mad_u64_u32 v[9:10], s[0:1], v7, s18, 0
	s_load_dwordx2 s[0:1], s[6:7], 0x0
	s_add_u32 s16, s16, 1
	v_add3_u32 v4, v10, v11, v4
	v_sub_co_u32_e32 v5, vcc, v5, v9
	v_subb_co_u32_e32 v4, vcc, v6, v4, vcc
	s_waitcnt lgkmcnt(0)
	v_mul_lo_u32 v4, s0, v4
	v_mul_lo_u32 v6, s1, v5
	v_mad_u64_u32 v[1:2], s[0:1], s0, v5, v[1:2]
	s_addc_u32 s17, s17, 0
	s_add_u32 s6, s6, 8
	v_add3_u32 v2, v6, v2, v4
	v_mov_b32_e32 v4, s10
	v_mov_b32_e32 v5, s11
	s_addc_u32 s7, s7, 0
	v_cmp_ge_u64_e32 vcc, s[16:17], v[4:5]
	s_add_u32 s14, s14, 8
	s_addc_u32 s15, s15, 0
	s_cbranch_vccnz .LBB0_9
; %bb.7:                                ;   in Loop: Header=BB0_2 Depth=1
	v_mov_b32_e32 v5, v7
	v_mov_b32_e32 v6, v8
	s_branch .LBB0_2
.LBB0_8:
	v_mov_b32_e32 v8, v6
	v_mov_b32_e32 v7, v5
.LBB0_9:
	s_lshl_b64 s[0:1], s[10:11], 3
	s_add_u32 s0, s2, s0
	s_addc_u32 s1, s3, s1
	s_load_dwordx2 s[2:3], s[0:1], 0x0
	s_load_dwordx2 s[6:7], s[4:5], 0x20
                                        ; implicit-def: $vgpr10_vgpr11
                                        ; implicit-def: $vgpr26_vgpr27
                                        ; implicit-def: $vgpr34_vgpr35
                                        ; implicit-def: $vgpr18_vgpr19
                                        ; implicit-def: $vgpr38_vgpr39
                                        ; implicit-def: $vgpr42_vgpr43
                                        ; implicit-def: $vgpr22_vgpr23
                                        ; implicit-def: $vgpr30_vgpr31
                                        ; implicit-def: $vgpr14_vgpr15
	s_waitcnt lgkmcnt(0)
	v_mad_u64_u32 v[1:2], s[0:1], s2, v7, v[1:2]
	s_mov_b32 s0, 0x295fad5
	v_mul_lo_u32 v3, s2, v8
	v_mul_lo_u32 v4, s3, v7
	v_mul_hi_u32 v5, v0, s0
	v_cmp_gt_u64_e64 s[0:1], s[6:7], v[7:8]
                                        ; implicit-def: $vgpr6_vgpr7
	v_add3_u32 v2, v4, v2, v3
	v_mul_u32_u24_e32 v3, 0x63, v5
	v_sub_u32_e32 v44, v0, v3
	v_cmp_gt_u32_e64 s[2:3], 54, v44
	v_lshlrev_b64 v[46:47], 4, v[1:2]
	s_and_b64 s[6:7], s[0:1], s[2:3]
                                        ; implicit-def: $vgpr2_vgpr3
	s_and_saveexec_b64 s[4:5], s[6:7]
	s_cbranch_execz .LBB0_11
; %bb.10:
	v_mov_b32_e32 v45, 0
	v_mov_b32_e32 v0, s13
	v_add_co_u32_e32 v2, vcc, s12, v46
	v_addc_co_u32_e32 v3, vcc, v0, v47, vcc
	v_lshlrev_b64 v[0:1], 4, v[44:45]
	s_movk_i32 s6, 0x1000
	v_add_co_u32_e32 v48, vcc, v2, v0
	v_addc_co_u32_e32 v49, vcc, v3, v1, vcc
	v_add_co_u32_e32 v50, vcc, s6, v48
	v_addc_co_u32_e32 v51, vcc, 0, v49, vcc
	v_add_co_u32_e32 v52, vcc, 0x2000, v48
	global_load_dwordx4 v[0:3], v[48:49], off
	global_load_dwordx4 v[4:7], v[48:49], off offset:864
	global_load_dwordx4 v[12:15], v[48:49], off offset:1728
	;; [unrolled: 1-line block ×3, first 2 shown]
	v_addc_co_u32_e32 v53, vcc, 0, v49, vcc
	global_load_dwordx4 v[20:23], v[48:49], off offset:3456
	global_load_dwordx4 v[40:43], v[50:51], off offset:224
	;; [unrolled: 1-line block ×7, first 2 shown]
.LBB0_11:
	s_or_b64 exec, exec, s[4:5]
	s_and_saveexec_b64 s[4:5], s[2:3]
	s_cbranch_execz .LBB0_13
; %bb.12:
	s_waitcnt vmcnt(9)
	v_add_f64 v[58:59], v[6:7], v[2:3]
	v_add_f64 v[60:61], v[4:5], v[0:1]
	s_waitcnt vmcnt(3)
	v_add_f64 v[62:63], v[20:21], -v[16:17]
	s_waitcnt vmcnt(2)
	v_add_f64 v[66:67], v[34:35], v[30:31]
	v_add_f64 v[68:69], v[16:17], v[20:21]
	v_add_f64 v[76:77], v[30:31], -v[34:35]
	v_add_f64 v[48:49], v[38:39], v[42:43]
	v_add_f64 v[50:51], v[42:43], -v[38:39]
	v_add_f64 v[58:59], v[14:15], v[58:59]
	v_add_f64 v[60:61], v[12:13], v[60:61]
	v_add_f64 v[64:65], v[28:29], -v[32:33]
	v_add_f64 v[74:75], v[32:33], v[28:29]
	s_waitcnt vmcnt(0)
	v_add_f64 v[80:81], v[8:9], v[4:5]
	s_mov_b32 s10, 0xfd768dbf
	s_mov_b32 s11, 0xbfd207e7
	v_add_f64 v[70:71], v[12:13], -v[24:25]
	v_add_f64 v[58:59], v[30:31], v[58:59]
	v_add_f64 v[60:61], v[28:29], v[60:61]
	v_add_f64 v[28:29], v[4:5], -v[8:9]
	s_mov_b32 s2, 0xf8bb580b
	s_mov_b32 s6, 0x9bcd5057
	;; [unrolled: 1-line block ×4, first 2 shown]
	v_add_f64 v[72:73], v[26:27], v[14:15]
	v_add_f64 v[30:31], v[22:23], v[58:59]
	;; [unrolled: 1-line block ×5, first 2 shown]
	v_mul_f64 v[12:13], v[28:29], s[10:11]
	v_add_f64 v[78:79], v[14:15], -v[26:27]
	v_mul_f64 v[14:15], v[70:71], s[2:3]
	s_mov_b32 s24, 0xbb3a28a1
	v_add_f64 v[4:5], v[42:43], v[30:31]
	v_add_f64 v[42:43], v[6:7], -v[10:11]
	v_add_f64 v[6:7], v[40:41], v[20:21]
	v_mul_f64 v[30:31], v[80:81], s[6:7]
	v_fma_f64 v[20:21], v[58:59], s[6:7], v[12:13]
	s_mov_b32 s14, 0x8764f0ba
	s_mov_b32 s25, 0xbfe82f19
	;; [unrolled: 1-line block ×3, first 2 shown]
	v_add_f64 v[4:5], v[38:39], v[4:5]
	s_mov_b32 s17, 0x3fd207e7
	v_add_f64 v[6:7], v[36:37], v[6:7]
	s_mov_b32 s16, s10
	v_add_f64 v[54:55], v[40:41], -v[36:37]
	v_add_f64 v[52:53], v[36:37], v[40:41]
	v_fma_f64 v[36:37], v[72:73], s[14:15], v[14:15]
	v_add_f64 v[20:21], v[2:3], v[20:21]
	v_add_f64 v[4:5], v[18:19], v[4:5]
	v_fma_f64 v[38:39], v[42:43], s[16:17], v[30:31]
	v_add_f64 v[6:7], v[16:17], v[6:7]
	v_mul_f64 v[16:17], v[64:65], s[24:25]
	s_mov_b32 s18, 0x7f775887
	s_mov_b32 s22, 0x8eee2c13
	;; [unrolled: 1-line block ×4, first 2 shown]
	v_add_f64 v[4:5], v[34:35], v[4:5]
	v_mul_f64 v[34:35], v[60:61], s[14:15]
	v_add_f64 v[6:7], v[32:33], v[6:7]
	s_mov_b32 s21, 0xbfe14ced
	s_mov_b32 s20, s2
	v_add_f64 v[56:57], v[18:19], v[22:23]
	v_fma_f64 v[32:33], v[66:67], s[18:19], v[16:17]
	v_add_f64 v[20:21], v[36:37], v[20:21]
	v_mul_f64 v[36:37], v[62:63], s[22:23]
	v_fma_f64 v[40:41], v[78:79], s[20:21], v[34:35]
	v_add_f64 v[38:39], v[0:1], v[38:39]
	v_add_f64 v[4:5], v[26:27], v[4:5]
	;; [unrolled: 1-line block ×3, first 2 shown]
	v_mul_f64 v[26:27], v[74:75], s[18:19]
	v_add_f64 v[82:83], v[22:23], -v[18:19]
	v_fma_f64 v[12:13], v[58:59], s[6:7], -v[12:13]
	v_fma_f64 v[18:19], v[42:43], s[10:11], v[30:31]
	s_mov_b32 s28, 0xd9c712b6
	s_mov_b32 s29, 0x3fda9628
	;; [unrolled: 1-line block ×4, first 2 shown]
	v_add_f64 v[20:21], v[32:33], v[20:21]
	v_fma_f64 v[32:33], v[56:57], s[28:29], v[36:37]
	v_add_f64 v[38:39], v[40:41], v[38:39]
	v_fma_f64 v[40:41], v[76:77], s[26:27], v[26:27]
	v_add_f64 v[6:7], v[10:11], v[4:5]
	v_add_f64 v[4:5], v[8:9], v[24:25]
	v_mul_f64 v[8:9], v[68:69], s[28:29]
	v_fma_f64 v[14:15], v[72:73], s[14:15], -v[14:15]
	v_add_f64 v[12:13], v[2:3], v[12:13]
	v_fma_f64 v[24:25], v[78:79], s[2:3], v[34:35]
	v_add_f64 v[18:19], v[0:1], v[18:19]
	s_mov_b32 s36, 0x43842ef
	s_mov_b32 s39, 0xbfed1bb4
	;; [unrolled: 1-line block ×4, first 2 shown]
	v_add_f64 v[10:11], v[32:33], v[20:21]
	v_add_f64 v[20:21], v[40:41], v[38:39]
	v_fma_f64 v[22:23], v[82:83], s[38:39], v[8:9]
	v_add_f64 v[12:13], v[14:15], v[12:13]
	v_mul_f64 v[14:15], v[54:55], s[36:37]
	v_fma_f64 v[16:17], v[66:67], s[18:19], -v[16:17]
	v_add_f64 v[18:19], v[24:25], v[18:19]
	v_fma_f64 v[26:27], v[76:77], s[24:25], v[26:27]
	v_mul_f64 v[30:31], v[28:29], s[24:25]
	s_mov_b32 s30, 0x640f44db
	s_mov_b32 s31, 0xbfc2375f
	;; [unrolled: 1-line block ×4, first 2 shown]
	v_mul_f64 v[24:25], v[52:53], s[30:31]
	v_add_f64 v[20:21], v[22:23], v[20:21]
	v_fma_f64 v[22:23], v[48:49], s[30:31], v[14:15]
	v_add_f64 v[12:13], v[16:17], v[12:13]
	v_fma_f64 v[32:33], v[56:57], s[28:29], -v[36:37]
	v_add_f64 v[18:19], v[26:27], v[18:19]
	v_fma_f64 v[26:27], v[58:59], s[18:19], v[30:31]
	v_mul_f64 v[36:37], v[70:71], s[34:35]
	v_fma_f64 v[16:17], v[50:51], s[34:35], v[24:25]
	v_mul_f64 v[34:35], v[80:81], s[18:19]
	v_add_f64 v[10:11], v[22:23], v[10:11]
	v_fma_f64 v[14:15], v[48:49], s[30:31], -v[14:15]
	v_add_f64 v[12:13], v[32:33], v[12:13]
	v_mul_f64 v[32:33], v[64:65], s[20:21]
	v_add_f64 v[22:23], v[2:3], v[26:27]
	v_fma_f64 v[26:27], v[72:73], s[30:31], v[36:37]
	v_fma_f64 v[38:39], v[82:83], s[22:23], v[8:9]
	v_add_f64 v[8:9], v[16:17], v[20:21]
	v_fma_f64 v[16:17], v[42:43], s[26:27], v[34:35]
	v_mul_f64 v[20:21], v[60:61], s[30:31]
	v_add_f64 v[14:15], v[14:15], v[12:13]
	v_fma_f64 v[12:13], v[58:59], s[18:19], -v[30:31]
	v_fma_f64 v[34:35], v[42:43], s[24:25], v[34:35]
	v_add_f64 v[22:23], v[26:27], v[22:23]
	v_fma_f64 v[26:27], v[66:67], s[14:15], v[32:33]
	v_add_f64 v[18:19], v[38:39], v[18:19]
	v_add_f64 v[16:17], v[0:1], v[16:17]
	v_fma_f64 v[38:39], v[78:79], s[36:37], v[20:21]
	v_mul_f64 v[40:41], v[74:75], s[14:15]
	v_mul_f64 v[30:31], v[62:63], s[10:11]
	v_add_f64 v[12:13], v[2:3], v[12:13]
	v_fma_f64 v[20:21], v[78:79], s[34:35], v[20:21]
	v_add_f64 v[22:23], v[26:27], v[22:23]
	v_fma_f64 v[26:27], v[72:73], s[30:31], -v[36:37]
	v_add_f64 v[34:35], v[0:1], v[34:35]
	v_add_f64 v[16:17], v[38:39], v[16:17]
	v_fma_f64 v[38:39], v[76:77], s[2:3], v[40:41]
	v_mul_f64 v[84:85], v[68:69], s[6:7]
	v_fma_f64 v[36:37], v[56:57], s[6:7], v[30:31]
	v_mul_f64 v[86:87], v[54:55], s[22:23]
	v_fma_f64 v[24:25], v[50:51], s[36:37], v[24:25]
	v_add_f64 v[12:13], v[26:27], v[12:13]
	v_fma_f64 v[26:27], v[66:67], s[14:15], -v[32:33]
	v_add_f64 v[20:21], v[20:21], v[34:35]
	v_fma_f64 v[32:33], v[76:77], s[20:21], v[40:41]
	v_mul_f64 v[34:35], v[28:29], s[36:37]
	v_add_f64 v[16:17], v[38:39], v[16:17]
	v_fma_f64 v[38:39], v[82:83], s[16:17], v[84:85]
	v_mul_f64 v[88:89], v[52:53], s[28:29]
	v_add_f64 v[22:23], v[36:37], v[22:23]
	v_fma_f64 v[36:37], v[48:49], s[28:29], v[86:87]
	v_add_f64 v[26:27], v[26:27], v[12:13]
	v_fma_f64 v[30:31], v[56:57], s[6:7], -v[30:31]
	v_add_f64 v[20:21], v[32:33], v[20:21]
	v_fma_f64 v[32:33], v[58:59], s[30:31], v[34:35]
	v_mul_f64 v[40:41], v[70:71], s[16:17]
	v_mul_f64 v[90:91], v[80:81], s[30:31]
	v_add_f64 v[16:17], v[38:39], v[16:17]
	v_fma_f64 v[38:39], v[50:51], s[38:39], v[88:89]
	v_fma_f64 v[84:85], v[82:83], s[10:11], v[84:85]
	v_add_f64 v[12:13], v[24:25], v[18:19]
	v_add_f64 v[18:19], v[36:37], v[22:23]
	v_add_f64 v[22:23], v[30:31], v[26:27]
	v_add_f64 v[24:25], v[2:3], v[32:33]
	v_fma_f64 v[26:27], v[72:73], s[6:7], v[40:41]
	v_fma_f64 v[30:31], v[42:43], s[34:35], v[90:91]
	v_mul_f64 v[32:33], v[60:61], s[6:7]
	v_fma_f64 v[34:35], v[58:59], s[30:31], -v[34:35]
	v_add_f64 v[16:17], v[38:39], v[16:17]
	v_add_f64 v[20:21], v[84:85], v[20:21]
	v_fma_f64 v[36:37], v[48:49], s[28:29], -v[86:87]
	v_mul_f64 v[38:39], v[64:65], s[22:23]
	v_fma_f64 v[84:85], v[50:51], s[22:23], v[88:89]
	v_add_f64 v[24:25], v[26:27], v[24:25]
	v_fma_f64 v[26:27], v[42:43], s[36:37], v[90:91]
	v_add_f64 v[30:31], v[0:1], v[30:31]
	v_fma_f64 v[86:87], v[78:79], s[10:11], v[32:33]
	v_mul_f64 v[88:89], v[74:75], s[28:29]
	v_fma_f64 v[40:41], v[72:73], s[6:7], -v[40:41]
	v_add_f64 v[34:35], v[2:3], v[34:35]
	v_fma_f64 v[90:91], v[66:67], s[28:29], v[38:39]
	v_fma_f64 v[32:33], v[78:79], s[16:17], v[32:33]
	v_add_f64 v[26:27], v[0:1], v[26:27]
	v_mul_f64 v[92:93], v[62:63], s[20:21]
	v_add_f64 v[30:31], v[86:87], v[30:31]
	v_fma_f64 v[86:87], v[76:77], s[38:39], v[88:89]
	v_mul_f64 v[94:95], v[68:69], s[14:15]
	v_add_f64 v[34:35], v[40:41], v[34:35]
	v_fma_f64 v[38:39], v[66:67], s[28:29], -v[38:39]
	v_add_f64 v[24:25], v[90:91], v[24:25]
	v_add_f64 v[26:27], v[32:33], v[26:27]
	v_fma_f64 v[32:33], v[76:77], s[22:23], v[88:89]
	v_fma_f64 v[40:41], v[56:57], s[14:15], v[92:93]
	v_add_f64 v[30:31], v[86:87], v[30:31]
	v_fma_f64 v[86:87], v[82:83], s[2:3], v[94:95]
	v_mul_f64 v[88:89], v[54:55], s[24:25]
	v_mul_f64 v[90:91], v[52:53], s[18:19]
	v_add_f64 v[34:35], v[38:39], v[34:35]
	v_fma_f64 v[38:39], v[56:57], s[14:15], -v[92:93]
	v_add_f64 v[26:27], v[32:33], v[26:27]
	v_fma_f64 v[32:33], v[82:83], s[20:21], v[94:95]
	v_add_f64 v[22:23], v[36:37], v[22:23]
	v_add_f64 v[24:25], v[40:41], v[24:25]
	;; [unrolled: 1-line block ×3, first 2 shown]
	v_fma_f64 v[36:37], v[48:49], s[18:19], v[88:89]
	v_fma_f64 v[40:41], v[50:51], s[26:27], v[90:91]
	v_add_f64 v[34:35], v[38:39], v[34:35]
	v_fma_f64 v[38:39], v[48:49], s[18:19], -v[88:89]
	v_add_f64 v[32:33], v[32:33], v[26:27]
	v_fma_f64 v[86:87], v[50:51], s[24:25], v[90:91]
	v_add_f64 v[20:21], v[84:85], v[20:21]
	v_mul_f64 v[84:85], v[28:29], s[20:21]
	v_add_f64 v[26:27], v[36:37], v[24:25]
	v_mul_f64 v[36:37], v[28:29], s[38:39]
	v_add_f64 v[24:25], v[40:41], v[30:31]
	v_add_f64 v[30:31], v[38:39], v[34:35]
	v_mul_f64 v[34:35], v[80:81], s[28:29]
	v_add_f64 v[28:29], v[86:87], v[32:33]
	v_mul_f64 v[32:33], v[80:81], s[14:15]
	v_fma_f64 v[38:39], v[58:59], s[14:15], -v[84:85]
	v_mul_f64 v[40:41], v[70:71], s[38:39]
	v_fma_f64 v[80:81], v[58:59], s[28:29], v[36:37]
	v_fma_f64 v[36:37], v[58:59], s[28:29], -v[36:37]
	v_fma_f64 v[58:59], v[58:59], s[14:15], v[84:85]
	v_fma_f64 v[84:85], v[42:43], s[22:23], v[34:35]
	;; [unrolled: 1-line block ×5, first 2 shown]
	v_mul_f64 v[70:71], v[70:71], s[24:25]
	v_add_f64 v[42:43], v[2:3], v[80:81]
	v_add_f64 v[38:39], v[2:3], v[38:39]
	v_mul_f64 v[90:91], v[64:65], s[36:37]
	v_add_f64 v[80:81], v[0:1], v[84:85]
	v_mul_f64 v[84:85], v[60:61], s[28:29]
	v_mul_f64 v[60:61], v[60:61], s[18:19]
	v_add_f64 v[32:33], v[0:1], v[32:33]
	v_add_f64 v[36:37], v[2:3], v[36:37]
	;; [unrolled: 1-line block ×4, first 2 shown]
	v_mul_f64 v[58:59], v[74:75], s[30:31]
	v_fma_f64 v[96:97], v[72:73], s[18:19], v[70:71]
	v_fma_f64 v[94:95], v[78:79], s[38:39], v[84:85]
	v_mul_f64 v[64:65], v[64:65], s[16:17]
	v_mul_f64 v[74:75], v[74:75], s[6:7]
	v_fma_f64 v[70:71], v[72:73], s[18:19], -v[70:71]
	v_mul_f64 v[92:93], v[62:63], s[24:25]
	v_mul_f64 v[62:63], v[62:63], s[34:35]
	v_fma_f64 v[88:89], v[72:73], s[28:29], -v[40:41]
	v_add_f64 v[42:43], v[96:97], v[42:43]
	v_add_f64 v[32:33], v[94:95], v[32:33]
	v_fma_f64 v[94:95], v[78:79], s[26:27], v[60:61]
	v_fma_f64 v[60:61], v[78:79], s[24:25], v[60:61]
	;; [unrolled: 1-line block ×3, first 2 shown]
	v_add_f64 v[36:37], v[70:71], v[36:37]
	v_fma_f64 v[64:65], v[66:67], s[6:7], -v[64:65]
	v_mul_f64 v[100:101], v[68:69], s[18:19]
	v_mul_f64 v[68:69], v[68:69], s[30:31]
	v_add_f64 v[0:1], v[0:1], v[86:87]
	v_add_f64 v[80:81], v[94:95], v[80:81]
	;; [unrolled: 1-line block ×3, first 2 shown]
	v_fma_f64 v[60:61], v[76:77], s[16:17], v[74:75]
	v_fma_f64 v[94:95], v[76:77], s[10:11], v[74:75]
	v_add_f64 v[42:43], v[96:97], v[42:43]
	v_fma_f64 v[96:97], v[56:57], s[30:31], v[62:63]
	v_add_f64 v[36:37], v[64:65], v[36:37]
	v_fma_f64 v[62:63], v[56:57], s[30:31], -v[62:63]
	v_fma_f64 v[40:41], v[72:73], s[28:29], v[40:41]
	v_add_f64 v[38:39], v[88:89], v[38:39]
	v_add_f64 v[34:35], v[60:61], v[34:35]
	v_fma_f64 v[60:61], v[78:79], s[22:23], v[84:85]
	v_fma_f64 v[88:89], v[66:67], s[30:31], -v[90:91]
	v_fma_f64 v[98:99], v[76:77], s[36:37], v[58:59]
	v_add_f64 v[80:81], v[94:95], v[80:81]
	v_fma_f64 v[94:95], v[82:83], s[36:37], v[68:69]
	v_add_f64 v[36:37], v[62:63], v[36:37]
	;; [unrolled: 2-line block ×3, first 2 shown]
	v_fma_f64 v[68:69], v[82:83], s[34:35], v[68:69]
	v_fma_f64 v[58:59], v[76:77], s[34:35], v[58:59]
	v_add_f64 v[0:1], v[60:61], v[0:1]
	v_add_f64 v[38:39], v[88:89], v[38:39]
	v_fma_f64 v[88:89], v[56:57], s[18:19], -v[92:93]
	v_add_f64 v[32:33], v[98:99], v[32:33]
	v_fma_f64 v[70:71], v[82:83], s[24:25], v[100:101]
	v_mul_f64 v[66:67], v[54:55], s[10:11]
	v_mul_f64 v[40:41], v[52:53], s[6:7]
	;; [unrolled: 1-line block ×4, first 2 shown]
	v_fma_f64 v[56:57], v[56:57], s[18:19], v[92:93]
	v_add_f64 v[2:3], v[62:63], v[2:3]
	v_add_f64 v[68:69], v[68:69], v[34:35]
	v_fma_f64 v[34:35], v[82:83], s[26:27], v[100:101]
	v_add_f64 v[0:1], v[58:59], v[0:1]
	v_add_f64 v[38:39], v[88:89], v[38:39]
	v_add_f64 v[32:33], v[70:71], v[32:33]
	v_fma_f64 v[60:61], v[48:49], s[6:7], -v[66:67]
	v_fma_f64 v[62:63], v[50:51], s[10:11], v[40:41]
	v_fma_f64 v[58:59], v[48:49], s[14:15], v[54:55]
	v_fma_f64 v[54:55], v[48:49], s[14:15], -v[54:55]
	v_fma_f64 v[48:49], v[48:49], s[6:7], v[66:67]
	v_fma_f64 v[66:67], v[50:51], s[2:3], v[52:53]
	v_add_f64 v[42:43], v[96:97], v[42:43]
	v_add_f64 v[64:65], v[94:95], v[80:81]
	v_add_f64 v[56:57], v[56:57], v[2:3]
	v_fma_f64 v[52:53], v[50:51], s[20:21], v[52:53]
	v_fma_f64 v[40:41], v[50:51], s[16:17], v[40:41]
	v_add_f64 v[50:51], v[34:35], v[0:1]
	v_add_f64 v[2:3], v[60:61], v[38:39]
	;; [unrolled: 1-line block ×5, first 2 shown]
	s_movk_i32 s2, 0xb0
	v_mad_u32_u24 v45, v44, s2, 0
	v_add_f64 v[34:35], v[58:59], v[42:43]
	v_add_f64 v[32:33], v[52:53], v[64:65]
	;; [unrolled: 1-line block ×4, first 2 shown]
	ds_write_b128 v45, v[4:7]
	ds_write_b128 v45, v[0:3] offset:16
	ds_write_b128 v45, v[36:39] offset:32
	;; [unrolled: 1-line block ×10, first 2 shown]
.LBB0_13:
	s_or_b64 exec, exec, s[4:5]
	s_movk_i32 s2, 0x75
	s_waitcnt vmcnt(10)
	v_mul_lo_u16_sdwa v1, v44, s2 dst_sel:DWORD dst_unused:UNUSED_PAD src0_sel:BYTE_0 src1_sel:DWORD
	v_sub_u16_sdwa v2, v44, v1 dst_sel:DWORD dst_unused:UNUSED_PAD src0_sel:DWORD src1_sel:BYTE_1
	v_lshrrev_b16_e32 v2, 1, v2
	v_and_b32_e32 v2, 0x7f, v2
	v_add_u16_sdwa v1, v2, v1 dst_sel:DWORD dst_unused:UNUSED_PAD src0_sel:DWORD src1_sel:BYTE_1
	s_waitcnt vmcnt(5)
	v_lshrrev_b16_e32 v42, 3, v1
	v_mul_lo_u16_e32 v1, 11, v42
	v_sub_u16_e32 v43, v44, v1
	v_mov_b32_e32 v45, 5
	v_add_u32_e32 v0, 0x63, v44
	v_lshlrev_b32_sdwa v1, v45, v43 dst_sel:DWORD dst_unused:UNUSED_PAD src0_sel:DWORD src1_sel:BYTE_0
	s_waitcnt vmcnt(0) lgkmcnt(0)
	s_barrier
	global_load_dwordx4 v[2:5], v1, s[8:9] offset:16
	global_load_dwordx4 v[6:9], v1, s[8:9]
	v_mul_lo_u16_sdwa v1, v0, s2 dst_sel:DWORD dst_unused:UNUSED_PAD src0_sel:BYTE_0 src1_sel:DWORD
	v_sub_u16_sdwa v10, v0, v1 dst_sel:DWORD dst_unused:UNUSED_PAD src0_sel:DWORD src1_sel:BYTE_1
	v_lshrrev_b16_e32 v10, 1, v10
	v_and_b32_e32 v10, 0x7f, v10
	v_add_u16_sdwa v1, v10, v1 dst_sel:DWORD dst_unused:UNUSED_PAD src0_sel:DWORD src1_sel:BYTE_1
	v_lshrrev_b16_e32 v48, 3, v1
	v_mul_lo_u16_e32 v1, 11, v48
	v_sub_u16_e32 v49, v0, v1
	v_lshlrev_b32_sdwa v1, v45, v49 dst_sel:DWORD dst_unused:UNUSED_PAD src0_sel:DWORD src1_sel:BYTE_0
	global_load_dwordx4 v[10:13], v1, s[8:9]
	global_load_dwordx4 v[14:17], v1, s[8:9] offset:16
	v_lshl_add_u32 v1, v44, 4, 0
	ds_read_b128 v[18:21], v1
	ds_read_b128 v[22:25], v1 offset:1584
	ds_read_b128 v[26:29], v1 offset:3168
	;; [unrolled: 1-line block ×5, first 2 shown]
	v_mov_b32_e32 v54, 4
	s_movk_i32 s6, 0xf9
	v_mul_lo_u16_sdwa v50, v44, s6 dst_sel:DWORD dst_unused:UNUSED_PAD src0_sel:BYTE_0 src1_sel:DWORD
	v_mul_u32_u24_e32 v57, 0x210, v42
	v_mul_u32_u24_e32 v58, 0x210, v48
	v_lshlrev_b32_sdwa v59, v54, v43 dst_sel:DWORD dst_unused:UNUSED_PAD src0_sel:DWORD src1_sel:BYTE_0
	v_lshlrev_b32_sdwa v60, v54, v49 dst_sel:DWORD dst_unused:UNUSED_PAD src0_sel:DWORD src1_sel:BYTE_0
	v_lshrrev_b16_e32 v55, 13, v50
	v_mul_lo_u16_e32 v50, 33, v55
	v_sub_u16_e32 v56, v44, v50
	s_mov_b32 s2, 0xe8584caa
	s_mov_b32 s3, 0xbfebb67a
	;; [unrolled: 1-line block ×4, first 2 shown]
	v_mul_u32_u24_sdwa v45, v56, v45 dst_sel:DWORD dst_unused:UNUSED_PAD src0_sel:BYTE_0 src1_sel:DWORD
	v_lshlrev_b32_e32 v45, 4, v45
	s_waitcnt vmcnt(0) lgkmcnt(0)
	s_barrier
	v_mul_f64 v[48:49], v[36:37], v[4:5]
	v_mul_f64 v[42:43], v[28:29], v[8:9]
	;; [unrolled: 1-line block ×4, first 2 shown]
	v_fma_f64 v[26:27], v[26:27], v[6:7], v[42:43]
	v_mul_f64 v[50:51], v[32:33], v[12:13]
	v_mul_f64 v[12:13], v[30:31], v[12:13]
	;; [unrolled: 1-line block ×4, first 2 shown]
	v_fma_f64 v[6:7], v[28:29], v[6:7], -v[8:9]
	v_fma_f64 v[8:9], v[34:35], v[2:3], v[48:49]
	v_fma_f64 v[4:5], v[36:37], v[2:3], -v[4:5]
	v_fma_f64 v[2:3], v[30:31], v[10:11], v[50:51]
	;; [unrolled: 2-line block ×3, first 2 shown]
	v_fma_f64 v[14:15], v[40:41], v[14:15], -v[16:17]
	v_add_f64 v[16:17], v[18:19], v[26:27]
	v_add_f64 v[28:29], v[26:27], v[8:9]
	v_add_f64 v[30:31], v[6:7], -v[4:5]
	v_add_f64 v[32:33], v[20:21], v[6:7]
	v_add_f64 v[6:7], v[6:7], v[4:5]
	;; [unrolled: 1-line block ×4, first 2 shown]
	v_add_f64 v[38:39], v[10:11], -v[14:15]
	v_add_f64 v[10:11], v[10:11], v[14:15]
	v_add_f64 v[26:27], v[26:27], -v[8:9]
	v_add_f64 v[34:35], v[22:23], v[2:3]
	v_add_f64 v[42:43], v[2:3], -v[12:13]
	v_fma_f64 v[18:19], v[28:29], -0.5, v[18:19]
	v_add_f64 v[2:3], v[16:17], v[8:9]
	v_fma_f64 v[16:17], v[6:7], -0.5, v[20:21]
	v_fma_f64 v[20:21], v[36:37], -0.5, v[22:23]
	;; [unrolled: 1-line block ×3, first 2 shown]
	v_add_f64 v[4:5], v[32:33], v[4:5]
	v_add_f64 v[6:7], v[34:35], v[12:13]
	;; [unrolled: 1-line block ×3, first 2 shown]
	v_fma_f64 v[10:11], v[30:31], s[2:3], v[18:19]
	v_fma_f64 v[14:15], v[30:31], s[4:5], v[18:19]
	;; [unrolled: 1-line block ×8, first 2 shown]
	v_add3_u32 v26, 0, v57, v59
	v_add3_u32 v27, 0, v58, v60
	ds_write_b128 v26, v[2:5]
	ds_write_b128 v26, v[10:13] offset:176
	ds_write_b128 v26, v[14:17] offset:352
	ds_write_b128 v27, v[6:9]
	ds_write_b128 v27, v[18:21] offset:176
	ds_write_b128 v27, v[22:25] offset:352
	s_waitcnt lgkmcnt(0)
	s_barrier
	global_load_dwordx4 v[2:5], v45, s[8:9] offset:352
	global_load_dwordx4 v[6:9], v45, s[8:9] offset:368
	;; [unrolled: 1-line block ×5, first 2 shown]
	v_mul_u32_u24_e32 v22, 0xc60, v55
	v_lshlrev_b32_sdwa v23, v54, v56 dst_sel:DWORD dst_unused:UNUSED_PAD src0_sel:DWORD src1_sel:BYTE_0
	v_add3_u32 v45, 0, v22, v23
	ds_read_b128 v[22:25], v1
	ds_read_b128 v[26:29], v1 offset:1584
	ds_read_b128 v[30:33], v1 offset:3168
	;; [unrolled: 1-line block ×5, first 2 shown]
	s_waitcnt vmcnt(0) lgkmcnt(0)
	s_barrier
	v_mul_f64 v[42:43], v[28:29], v[4:5]
	v_mul_f64 v[4:5], v[26:27], v[4:5]
	;; [unrolled: 1-line block ×10, first 2 shown]
	v_fma_f64 v[36:37], v[36:37], v[10:11], -v[54:55]
	v_fma_f64 v[50:51], v[50:51], v[14:15], -v[56:57]
	v_fma_f64 v[30:31], v[30:31], v[6:7], v[52:53]
	v_fma_f64 v[6:7], v[32:33], v[6:7], -v[8:9]
	v_fma_f64 v[8:9], v[38:39], v[18:19], v[58:59]
	;; [unrolled: 2-line block ×3, first 2 shown]
	v_fma_f64 v[10:11], v[34:35], v[10:11], v[12:13]
	v_fma_f64 v[12:13], v[48:49], v[14:15], v[16:17]
	v_fma_f64 v[2:3], v[28:29], v[2:3], -v[4:5]
	v_add_f64 v[4:5], v[36:37], v[50:51]
	v_add_f64 v[14:15], v[22:23], v[30:31]
	;; [unrolled: 1-line block ×3, first 2 shown]
	v_add_f64 v[26:27], v[6:7], -v[18:19]
	v_add_f64 v[28:29], v[24:25], v[6:7]
	v_add_f64 v[6:7], v[6:7], v[18:19]
	;; [unrolled: 1-line block ×3, first 2 shown]
	v_add_f64 v[34:35], v[10:11], -v[12:13]
	v_fma_f64 v[4:5], v[4:5], -0.5, v[2:3]
	v_add_f64 v[30:31], v[30:31], -v[8:9]
	v_add_f64 v[10:11], v[20:21], v[10:11]
	v_add_f64 v[38:39], v[36:37], -v[50:51]
	v_add_f64 v[2:3], v[2:3], v[36:37]
	v_add_f64 v[8:9], v[14:15], v[8:9]
	v_fma_f64 v[14:15], v[32:33], -0.5, v[20:21]
	v_fma_f64 v[16:17], v[16:17], -0.5, v[22:23]
	v_fma_f64 v[20:21], v[34:35], s[4:5], v[4:5]
	v_fma_f64 v[4:5], v[34:35], s[2:3], v[4:5]
	v_fma_f64 v[6:7], v[6:7], -0.5, v[24:25]
	v_add_f64 v[10:11], v[10:11], v[12:13]
	v_add_f64 v[12:13], v[2:3], v[50:51]
	;; [unrolled: 1-line block ×3, first 2 shown]
	v_fma_f64 v[2:3], v[38:39], s[2:3], v[14:15]
	v_fma_f64 v[14:15], v[38:39], s[4:5], v[14:15]
	v_mul_f64 v[22:23], v[20:21], s[2:3]
	v_mul_f64 v[20:21], v[20:21], 0.5
	v_mul_f64 v[24:25], v[4:5], s[2:3]
	v_mul_f64 v[4:5], v[4:5], -0.5
	v_fma_f64 v[28:29], v[26:27], s[2:3], v[16:17]
	v_fma_f64 v[32:33], v[30:31], s[4:5], v[6:7]
	;; [unrolled: 1-line block ×4, first 2 shown]
	v_fma_f64 v[22:23], v[2:3], 0.5, v[22:23]
	v_fma_f64 v[20:21], v[2:3], s[4:5], v[20:21]
	v_fma_f64 v[24:25], v[14:15], -0.5, v[24:25]
	v_fma_f64 v[34:35], v[14:15], s[4:5], v[4:5]
	v_add_f64 v[2:3], v[8:9], v[10:11]
	v_add_f64 v[4:5], v[18:19], v[12:13]
	v_add_f64 v[6:7], v[8:9], -v[10:11]
	v_add_f64 v[8:9], v[18:19], -v[12:13]
	v_add_f64 v[10:11], v[28:29], v[22:23]
	v_add_f64 v[12:13], v[32:33], v[20:21]
	;; [unrolled: 1-line block ×4, first 2 shown]
	v_add_f64 v[18:19], v[28:29], -v[22:23]
	v_add_f64 v[20:21], v[32:33], -v[20:21]
	;; [unrolled: 1-line block ×4, first 2 shown]
	ds_write_b128 v45, v[2:5]
	ds_write_b128 v45, v[6:9] offset:1584
	ds_write_b128 v45, v[10:13] offset:528
	;; [unrolled: 1-line block ×5, first 2 shown]
	s_waitcnt lgkmcnt(0)
	s_barrier
	s_and_saveexec_b64 s[6:7], s[0:1]
	s_cbranch_execz .LBB0_15
; %bb.14:
	v_lshlrev_b32_e32 v42, 1, v0
	v_mov_b32_e32 v43, 0
	v_lshlrev_b64 v[2:3], 4, v[42:43]
	v_mov_b32_e32 v12, s9
	v_add_co_u32_e32 v10, vcc, s8, v2
	v_addc_co_u32_e32 v11, vcc, v12, v3, vcc
	v_lshlrev_b32_e32 v42, 1, v44
	global_load_dwordx4 v[2:5], v[10:11], off offset:3008
	global_load_dwordx4 v[6:9], v[10:11], off offset:2992
	v_lshlrev_b64 v[10:11], 4, v[42:43]
	s_mov_b32 s1, 0xa57eb503
	v_add_co_u32_e32 v18, vcc, s8, v10
	v_addc_co_u32_e32 v19, vcc, v12, v11, vcc
	global_load_dwordx4 v[10:13], v[18:19], off offset:2992
	global_load_dwordx4 v[14:17], v[18:19], off offset:3008
	ds_read_b128 v[18:21], v1 offset:1584
	ds_read_b128 v[22:25], v1
	ds_read_b128 v[26:29], v1 offset:4752
	ds_read_b128 v[30:33], v1 offset:3168
	;; [unrolled: 1-line block ×4, first 2 shown]
	v_mov_b32_e32 v1, s13
	v_add_co_u32_e32 v42, vcc, s12, v46
	v_addc_co_u32_e32 v46, vcc, v1, v47, vcc
	v_mul_hi_u32 v47, v0, s1
	v_mov_b32_e32 v45, v43
	v_lshlrev_b64 v[0:1], 4, v[44:45]
	s_movk_i32 s0, 0x1000
	v_add_co_u32_e32 v44, vcc, v42, v0
	v_lshrrev_b32_e32 v0, 7, v47
	v_addc_co_u32_e32 v45, vcc, v46, v1, vcc
	v_mul_u32_u24_e32 v42, 0x18c, v0
	v_add_co_u32_e32 v46, vcc, s0, v44
	v_lshlrev_b64 v[0:1], 4, v[42:43]
	v_addc_co_u32_e32 v47, vcc, 0, v45, vcc
	v_add_co_u32_e32 v42, vcc, v44, v0
	v_addc_co_u32_e32 v43, vcc, v45, v1, vcc
	v_add_co_u32_e32 v48, vcc, 0x630, v42
	v_addc_co_u32_e32 v49, vcc, 0, v43, vcc
	s_waitcnt vmcnt(3) lgkmcnt(1)
	v_mul_f64 v[50:51], v[4:5], v[34:35]
	s_waitcnt vmcnt(2)
	v_mul_f64 v[0:1], v[8:9], v[26:27]
	v_mul_f64 v[26:27], v[6:7], v[26:27]
	v_mul_f64 v[34:35], v[2:3], v[34:35]
	s_waitcnt vmcnt(1)
	v_mul_f64 v[52:53], v[12:13], v[30:31]
	s_waitcnt vmcnt(0) lgkmcnt(0)
	v_mul_f64 v[54:55], v[16:17], v[38:39]
	v_mul_f64 v[30:31], v[10:11], v[30:31]
	v_mul_f64 v[38:39], v[14:15], v[38:39]
	v_fma_f64 v[0:1], v[6:7], v[28:29], -v[0:1]
	v_fma_f64 v[2:3], v[2:3], v[36:37], -v[50:51]
	v_fma_f64 v[6:7], v[28:29], v[8:9], v[26:27]
	v_fma_f64 v[4:5], v[36:37], v[4:5], v[34:35]
	v_fma_f64 v[8:9], v[10:11], v[32:33], -v[52:53]
	v_fma_f64 v[10:11], v[14:15], v[40:41], -v[54:55]
	v_fma_f64 v[12:13], v[32:33], v[12:13], v[30:31]
	v_fma_f64 v[14:15], v[40:41], v[16:17], v[38:39]
	v_add_f64 v[29:30], v[20:21], v[0:1]
	v_add_f64 v[16:17], v[0:1], v[2:3]
	v_add_f64 v[31:32], v[0:1], -v[2:3]
	v_add_f64 v[0:1], v[6:7], v[4:5]
	v_add_f64 v[27:28], v[6:7], -v[4:5]
	v_add_f64 v[33:34], v[8:9], v[10:11]
	v_add_f64 v[6:7], v[6:7], v[18:19]
	;; [unrolled: 1-line block ×3, first 2 shown]
	v_add_f64 v[35:36], v[12:13], -v[14:15]
	v_add_f64 v[39:40], v[24:25], v[8:9]
	v_add_f64 v[12:13], v[12:13], v[22:23]
	v_add_f64 v[8:9], v[8:9], -v[10:11]
	v_fma_f64 v[16:17], v[16:17], -0.5, v[20:21]
	v_add_f64 v[2:3], v[29:30], v[2:3]
	v_fma_f64 v[20:21], v[33:34], -0.5, v[24:25]
	v_fma_f64 v[29:30], v[37:38], -0.5, v[22:23]
	;; [unrolled: 1-line block ×3, first 2 shown]
	v_add_f64 v[0:1], v[4:5], v[6:7]
	v_add_f64 v[6:7], v[39:40], v[10:11]
	;; [unrolled: 1-line block ×3, first 2 shown]
	v_fma_f64 v[10:11], v[27:28], s[2:3], v[16:17]
	v_fma_f64 v[14:15], v[27:28], s[4:5], v[16:17]
	;; [unrolled: 1-line block ×8, first 2 shown]
	v_add_co_u32_e32 v26, vcc, 0x1000, v42
	v_addc_co_u32_e32 v27, vcc, 0, v43, vcc
	global_store_dwordx4 v[44:45], v[4:7], off
	global_store_dwordx4 v[44:45], v[20:23], off offset:3168
	global_store_dwordx4 v[46:47], v[16:19], off offset:2240
	;; [unrolled: 1-line block ×5, first 2 shown]
.LBB0_15:
	s_endpgm
	.section	.rodata,"a",@progbits
	.p2align	6, 0x0
	.amdhsa_kernel fft_rtc_back_len594_factors_11_3_6_3_wgs_99_tpt_99_dp_ip_CI_unitstride_sbrr_dirReg
		.amdhsa_group_segment_fixed_size 0
		.amdhsa_private_segment_fixed_size 0
		.amdhsa_kernarg_size 88
		.amdhsa_user_sgpr_count 6
		.amdhsa_user_sgpr_private_segment_buffer 1
		.amdhsa_user_sgpr_dispatch_ptr 0
		.amdhsa_user_sgpr_queue_ptr 0
		.amdhsa_user_sgpr_kernarg_segment_ptr 1
		.amdhsa_user_sgpr_dispatch_id 0
		.amdhsa_user_sgpr_flat_scratch_init 0
		.amdhsa_user_sgpr_private_segment_size 0
		.amdhsa_uses_dynamic_stack 0
		.amdhsa_system_sgpr_private_segment_wavefront_offset 0
		.amdhsa_system_sgpr_workgroup_id_x 1
		.amdhsa_system_sgpr_workgroup_id_y 0
		.amdhsa_system_sgpr_workgroup_id_z 0
		.amdhsa_system_sgpr_workgroup_info 0
		.amdhsa_system_vgpr_workitem_id 0
		.amdhsa_next_free_vgpr 102
		.amdhsa_next_free_sgpr 40
		.amdhsa_reserve_vcc 1
		.amdhsa_reserve_flat_scratch 0
		.amdhsa_float_round_mode_32 0
		.amdhsa_float_round_mode_16_64 0
		.amdhsa_float_denorm_mode_32 3
		.amdhsa_float_denorm_mode_16_64 3
		.amdhsa_dx10_clamp 1
		.amdhsa_ieee_mode 1
		.amdhsa_fp16_overflow 0
		.amdhsa_exception_fp_ieee_invalid_op 0
		.amdhsa_exception_fp_denorm_src 0
		.amdhsa_exception_fp_ieee_div_zero 0
		.amdhsa_exception_fp_ieee_overflow 0
		.amdhsa_exception_fp_ieee_underflow 0
		.amdhsa_exception_fp_ieee_inexact 0
		.amdhsa_exception_int_div_zero 0
	.end_amdhsa_kernel
	.text
.Lfunc_end0:
	.size	fft_rtc_back_len594_factors_11_3_6_3_wgs_99_tpt_99_dp_ip_CI_unitstride_sbrr_dirReg, .Lfunc_end0-fft_rtc_back_len594_factors_11_3_6_3_wgs_99_tpt_99_dp_ip_CI_unitstride_sbrr_dirReg
                                        ; -- End function
	.section	.AMDGPU.csdata,"",@progbits
; Kernel info:
; codeLenInByte = 6108
; NumSgprs: 44
; NumVgprs: 102
; ScratchSize: 0
; MemoryBound: 1
; FloatMode: 240
; IeeeMode: 1
; LDSByteSize: 0 bytes/workgroup (compile time only)
; SGPRBlocks: 5
; VGPRBlocks: 25
; NumSGPRsForWavesPerEU: 44
; NumVGPRsForWavesPerEU: 102
; Occupancy: 2
; WaveLimiterHint : 1
; COMPUTE_PGM_RSRC2:SCRATCH_EN: 0
; COMPUTE_PGM_RSRC2:USER_SGPR: 6
; COMPUTE_PGM_RSRC2:TRAP_HANDLER: 0
; COMPUTE_PGM_RSRC2:TGID_X_EN: 1
; COMPUTE_PGM_RSRC2:TGID_Y_EN: 0
; COMPUTE_PGM_RSRC2:TGID_Z_EN: 0
; COMPUTE_PGM_RSRC2:TIDIG_COMP_CNT: 0
	.type	__hip_cuid_cfc9abc4e7644312,@object ; @__hip_cuid_cfc9abc4e7644312
	.section	.bss,"aw",@nobits
	.globl	__hip_cuid_cfc9abc4e7644312
__hip_cuid_cfc9abc4e7644312:
	.byte	0                               ; 0x0
	.size	__hip_cuid_cfc9abc4e7644312, 1

	.ident	"AMD clang version 19.0.0git (https://github.com/RadeonOpenCompute/llvm-project roc-6.4.0 25133 c7fe45cf4b819c5991fe208aaa96edf142730f1d)"
	.section	".note.GNU-stack","",@progbits
	.addrsig
	.addrsig_sym __hip_cuid_cfc9abc4e7644312
	.amdgpu_metadata
---
amdhsa.kernels:
  - .args:
      - .actual_access:  read_only
        .address_space:  global
        .offset:         0
        .size:           8
        .value_kind:     global_buffer
      - .offset:         8
        .size:           8
        .value_kind:     by_value
      - .actual_access:  read_only
        .address_space:  global
        .offset:         16
        .size:           8
        .value_kind:     global_buffer
      - .actual_access:  read_only
        .address_space:  global
        .offset:         24
        .size:           8
        .value_kind:     global_buffer
      - .offset:         32
        .size:           8
        .value_kind:     by_value
      - .actual_access:  read_only
        .address_space:  global
        .offset:         40
        .size:           8
        .value_kind:     global_buffer
      - .actual_access:  read_only
        .address_space:  global
        .offset:         48
        .size:           8
        .value_kind:     global_buffer
      - .offset:         56
        .size:           4
        .value_kind:     by_value
      - .actual_access:  read_only
        .address_space:  global
        .offset:         64
        .size:           8
        .value_kind:     global_buffer
      - .actual_access:  read_only
        .address_space:  global
        .offset:         72
        .size:           8
        .value_kind:     global_buffer
      - .address_space:  global
        .offset:         80
        .size:           8
        .value_kind:     global_buffer
    .group_segment_fixed_size: 0
    .kernarg_segment_align: 8
    .kernarg_segment_size: 88
    .language:       OpenCL C
    .language_version:
      - 2
      - 0
    .max_flat_workgroup_size: 99
    .name:           fft_rtc_back_len594_factors_11_3_6_3_wgs_99_tpt_99_dp_ip_CI_unitstride_sbrr_dirReg
    .private_segment_fixed_size: 0
    .sgpr_count:     44
    .sgpr_spill_count: 0
    .symbol:         fft_rtc_back_len594_factors_11_3_6_3_wgs_99_tpt_99_dp_ip_CI_unitstride_sbrr_dirReg.kd
    .uniform_work_group_size: 1
    .uses_dynamic_stack: false
    .vgpr_count:     102
    .vgpr_spill_count: 0
    .wavefront_size: 64
amdhsa.target:   amdgcn-amd-amdhsa--gfx906
amdhsa.version:
  - 1
  - 2
...

	.end_amdgpu_metadata
